;; amdgpu-corpus repo=ROCm/rocFFT kind=compiled arch=gfx1201 opt=O3
	.text
	.amdgcn_target "amdgcn-amd-amdhsa--gfx1201"
	.amdhsa_code_object_version 6
	.protected	fft_rtc_back_len288_factors_6_6_4_2_wgs_120_tpt_24_halfLds_half_op_CI_CI_unitstride_sbrr_R2C_dirReg ; -- Begin function fft_rtc_back_len288_factors_6_6_4_2_wgs_120_tpt_24_halfLds_half_op_CI_CI_unitstride_sbrr_R2C_dirReg
	.globl	fft_rtc_back_len288_factors_6_6_4_2_wgs_120_tpt_24_halfLds_half_op_CI_CI_unitstride_sbrr_R2C_dirReg
	.p2align	8
	.type	fft_rtc_back_len288_factors_6_6_4_2_wgs_120_tpt_24_halfLds_half_op_CI_CI_unitstride_sbrr_R2C_dirReg,@function
fft_rtc_back_len288_factors_6_6_4_2_wgs_120_tpt_24_halfLds_half_op_CI_CI_unitstride_sbrr_R2C_dirReg: ; @fft_rtc_back_len288_factors_6_6_4_2_wgs_120_tpt_24_halfLds_half_op_CI_CI_unitstride_sbrr_R2C_dirReg
; %bb.0:
	s_load_b128 s[8:11], s[0:1], 0x0
	v_mul_u32_u24_e32 v1, 0xaab, v0
	s_clause 0x1
	s_load_b128 s[4:7], s[0:1], 0x58
	s_load_b128 s[12:15], s[0:1], 0x18
	v_mov_b32_e32 v7, 0
	v_mov_b32_e32 v17, 0
	;; [unrolled: 1-line block ×3, first 2 shown]
	v_lshrrev_b32_e32 v1, 16, v1
	s_delay_alu instid0(VALU_DEP_1) | instskip(NEXT) | instid1(VALU_DEP_4)
	v_mad_co_u64_u32 v[3:4], null, ttmp9, 5, v[1:2]
	v_dual_mov_b32 v4, v7 :: v_dual_mov_b32 v1, v17
	s_delay_alu instid0(VALU_DEP_4) | instskip(NEXT) | instid1(VALU_DEP_2)
	v_mov_b32_e32 v2, v18
	v_dual_mov_b32 v6, v4 :: v_dual_mov_b32 v5, v3
	s_wait_kmcnt 0x0
	v_cmp_lt_u64_e64 s2, s[10:11], 2
	s_delay_alu instid0(VALU_DEP_1)
	s_and_b32 vcc_lo, exec_lo, s2
	s_cbranch_vccnz .LBB0_8
; %bb.1:
	s_load_b64 s[2:3], s[0:1], 0x10
	v_dual_mov_b32 v17, 0 :: v_dual_mov_b32 v10, v4
	v_dual_mov_b32 v18, 0 :: v_dual_mov_b32 v9, v3
	s_delay_alu instid0(VALU_DEP_2) | instskip(SKIP_2) | instid1(VALU_DEP_2)
	v_mov_b32_e32 v1, v17
	s_add_nc_u64 s[16:17], s[14:15], 8
	s_add_nc_u64 s[18:19], s[12:13], 8
	v_mov_b32_e32 v2, v18
	s_mov_b64 s[20:21], 1
	s_wait_kmcnt 0x0
	s_add_nc_u64 s[22:23], s[2:3], 8
	s_mov_b32 s3, 0
.LBB0_2:                                ; =>This Inner Loop Header: Depth=1
	s_load_b64 s[24:25], s[22:23], 0x0
                                        ; implicit-def: $vgpr5_vgpr6
	s_mov_b32 s2, exec_lo
	s_wait_kmcnt 0x0
	v_or_b32_e32 v8, s25, v10
	s_delay_alu instid0(VALU_DEP_1)
	v_cmpx_ne_u64_e32 0, v[7:8]
	s_wait_alu 0xfffe
	s_xor_b32 s26, exec_lo, s2
	s_cbranch_execz .LBB0_4
; %bb.3:                                ;   in Loop: Header=BB0_2 Depth=1
	s_cvt_f32_u32 s2, s24
	s_cvt_f32_u32 s27, s25
	s_sub_nc_u64 s[30:31], 0, s[24:25]
	s_wait_alu 0xfffe
	s_delay_alu instid0(SALU_CYCLE_1) | instskip(SKIP_1) | instid1(SALU_CYCLE_2)
	s_fmamk_f32 s2, s27, 0x4f800000, s2
	s_wait_alu 0xfffe
	v_s_rcp_f32 s2, s2
	s_delay_alu instid0(TRANS32_DEP_1) | instskip(SKIP_1) | instid1(SALU_CYCLE_2)
	s_mul_f32 s2, s2, 0x5f7ffffc
	s_wait_alu 0xfffe
	s_mul_f32 s27, s2, 0x2f800000
	s_wait_alu 0xfffe
	s_delay_alu instid0(SALU_CYCLE_2) | instskip(SKIP_1) | instid1(SALU_CYCLE_2)
	s_trunc_f32 s27, s27
	s_wait_alu 0xfffe
	s_fmamk_f32 s2, s27, 0xcf800000, s2
	s_cvt_u32_f32 s29, s27
	s_wait_alu 0xfffe
	s_delay_alu instid0(SALU_CYCLE_1) | instskip(SKIP_1) | instid1(SALU_CYCLE_2)
	s_cvt_u32_f32 s28, s2
	s_wait_alu 0xfffe
	s_mul_u64 s[34:35], s[30:31], s[28:29]
	s_wait_alu 0xfffe
	s_mul_hi_u32 s37, s28, s35
	s_mul_i32 s36, s28, s35
	s_mul_hi_u32 s2, s28, s34
	s_mul_i32 s33, s29, s34
	s_wait_alu 0xfffe
	s_add_nc_u64 s[36:37], s[2:3], s[36:37]
	s_mul_hi_u32 s27, s29, s34
	s_mul_hi_u32 s38, s29, s35
	s_add_co_u32 s2, s36, s33
	s_wait_alu 0xfffe
	s_add_co_ci_u32 s2, s37, s27
	s_mul_i32 s34, s29, s35
	s_add_co_ci_u32 s35, s38, 0
	s_wait_alu 0xfffe
	s_add_nc_u64 s[34:35], s[2:3], s[34:35]
	s_wait_alu 0xfffe
	v_add_co_u32 v4, s2, s28, s34
	s_delay_alu instid0(VALU_DEP_1) | instskip(SKIP_1) | instid1(VALU_DEP_1)
	s_cmp_lg_u32 s2, 0
	s_add_co_ci_u32 s29, s29, s35
	v_readfirstlane_b32 s28, v4
	s_wait_alu 0xfffe
	s_delay_alu instid0(VALU_DEP_1)
	s_mul_u64 s[30:31], s[30:31], s[28:29]
	s_wait_alu 0xfffe
	s_mul_hi_u32 s35, s28, s31
	s_mul_i32 s34, s28, s31
	s_mul_hi_u32 s2, s28, s30
	s_mul_i32 s33, s29, s30
	s_wait_alu 0xfffe
	s_add_nc_u64 s[34:35], s[2:3], s[34:35]
	s_mul_hi_u32 s27, s29, s30
	s_mul_hi_u32 s28, s29, s31
	s_wait_alu 0xfffe
	s_add_co_u32 s2, s34, s33
	s_add_co_ci_u32 s2, s35, s27
	s_mul_i32 s30, s29, s31
	s_add_co_ci_u32 s31, s28, 0
	s_wait_alu 0xfffe
	s_add_nc_u64 s[30:31], s[2:3], s[30:31]
	s_wait_alu 0xfffe
	v_add_co_u32 v6, s2, v4, s30
	s_delay_alu instid0(VALU_DEP_1) | instskip(SKIP_1) | instid1(VALU_DEP_1)
	s_cmp_lg_u32 s2, 0
	s_add_co_ci_u32 s2, s29, s31
	v_mul_hi_u32 v8, v9, v6
	s_wait_alu 0xfffe
	v_mad_co_u64_u32 v[4:5], null, v9, s2, 0
	v_mad_co_u64_u32 v[11:12], null, v10, v6, 0
	;; [unrolled: 1-line block ×3, first 2 shown]
	s_delay_alu instid0(VALU_DEP_3) | instskip(SKIP_1) | instid1(VALU_DEP_4)
	v_add_co_u32 v4, vcc_lo, v8, v4
	s_wait_alu 0xfffd
	v_add_co_ci_u32_e32 v5, vcc_lo, 0, v5, vcc_lo
	s_delay_alu instid0(VALU_DEP_2) | instskip(SKIP_1) | instid1(VALU_DEP_2)
	v_add_co_u32 v4, vcc_lo, v4, v11
	s_wait_alu 0xfffd
	v_add_co_ci_u32_e32 v4, vcc_lo, v5, v12, vcc_lo
	s_wait_alu 0xfffd
	v_add_co_ci_u32_e32 v5, vcc_lo, 0, v14, vcc_lo
	s_delay_alu instid0(VALU_DEP_2) | instskip(SKIP_1) | instid1(VALU_DEP_2)
	v_add_co_u32 v8, vcc_lo, v4, v13
	s_wait_alu 0xfffd
	v_add_co_ci_u32_e32 v6, vcc_lo, 0, v5, vcc_lo
	s_delay_alu instid0(VALU_DEP_2) | instskip(SKIP_1) | instid1(VALU_DEP_3)
	v_mul_lo_u32 v11, s25, v8
	v_mad_co_u64_u32 v[4:5], null, s24, v8, 0
	v_mul_lo_u32 v12, s24, v6
	s_delay_alu instid0(VALU_DEP_2) | instskip(NEXT) | instid1(VALU_DEP_2)
	v_sub_co_u32 v4, vcc_lo, v9, v4
	v_add3_u32 v5, v5, v12, v11
	s_delay_alu instid0(VALU_DEP_1) | instskip(SKIP_1) | instid1(VALU_DEP_1)
	v_sub_nc_u32_e32 v11, v10, v5
	s_wait_alu 0xfffd
	v_subrev_co_ci_u32_e64 v11, s2, s25, v11, vcc_lo
	v_add_co_u32 v12, s2, v8, 2
	s_wait_alu 0xf1ff
	v_add_co_ci_u32_e64 v13, s2, 0, v6, s2
	v_sub_co_u32 v14, s2, v4, s24
	v_sub_co_ci_u32_e32 v5, vcc_lo, v10, v5, vcc_lo
	s_wait_alu 0xf1ff
	v_subrev_co_ci_u32_e64 v11, s2, 0, v11, s2
	s_delay_alu instid0(VALU_DEP_3) | instskip(NEXT) | instid1(VALU_DEP_3)
	v_cmp_le_u32_e32 vcc_lo, s24, v14
	v_cmp_eq_u32_e64 s2, s25, v5
	s_wait_alu 0xfffd
	v_cndmask_b32_e64 v14, 0, -1, vcc_lo
	v_cmp_le_u32_e32 vcc_lo, s25, v11
	s_wait_alu 0xfffd
	v_cndmask_b32_e64 v15, 0, -1, vcc_lo
	v_cmp_le_u32_e32 vcc_lo, s24, v4
	;; [unrolled: 3-line block ×3, first 2 shown]
	s_wait_alu 0xfffd
	v_cndmask_b32_e64 v16, 0, -1, vcc_lo
	v_cmp_eq_u32_e32 vcc_lo, s25, v11
	s_wait_alu 0xf1ff
	s_delay_alu instid0(VALU_DEP_2)
	v_cndmask_b32_e64 v4, v16, v4, s2
	s_wait_alu 0xfffd
	v_cndmask_b32_e32 v11, v15, v14, vcc_lo
	v_add_co_u32 v14, vcc_lo, v8, 1
	s_wait_alu 0xfffd
	v_add_co_ci_u32_e32 v15, vcc_lo, 0, v6, vcc_lo
	s_delay_alu instid0(VALU_DEP_3) | instskip(SKIP_1) | instid1(VALU_DEP_2)
	v_cmp_ne_u32_e32 vcc_lo, 0, v11
	s_wait_alu 0xfffd
	v_cndmask_b32_e32 v5, v15, v13, vcc_lo
	v_cndmask_b32_e32 v11, v14, v12, vcc_lo
	v_cmp_ne_u32_e32 vcc_lo, 0, v4
	s_wait_alu 0xfffd
	s_delay_alu instid0(VALU_DEP_2)
	v_dual_cndmask_b32 v6, v6, v5 :: v_dual_cndmask_b32 v5, v8, v11
.LBB0_4:                                ;   in Loop: Header=BB0_2 Depth=1
	s_wait_alu 0xfffe
	s_and_not1_saveexec_b32 s2, s26
	s_cbranch_execz .LBB0_6
; %bb.5:                                ;   in Loop: Header=BB0_2 Depth=1
	v_cvt_f32_u32_e32 v4, s24
	s_sub_co_i32 s26, 0, s24
	s_delay_alu instid0(VALU_DEP_1) | instskip(NEXT) | instid1(TRANS32_DEP_1)
	v_rcp_iflag_f32_e32 v4, v4
	v_mul_f32_e32 v4, 0x4f7ffffe, v4
	s_delay_alu instid0(VALU_DEP_1) | instskip(SKIP_1) | instid1(VALU_DEP_1)
	v_cvt_u32_f32_e32 v4, v4
	s_wait_alu 0xfffe
	v_mul_lo_u32 v5, s26, v4
	s_delay_alu instid0(VALU_DEP_1) | instskip(NEXT) | instid1(VALU_DEP_1)
	v_mul_hi_u32 v5, v4, v5
	v_add_nc_u32_e32 v4, v4, v5
	s_delay_alu instid0(VALU_DEP_1) | instskip(NEXT) | instid1(VALU_DEP_1)
	v_mul_hi_u32 v4, v9, v4
	v_mul_lo_u32 v5, v4, s24
	v_add_nc_u32_e32 v6, 1, v4
	s_delay_alu instid0(VALU_DEP_2) | instskip(NEXT) | instid1(VALU_DEP_1)
	v_sub_nc_u32_e32 v5, v9, v5
	v_subrev_nc_u32_e32 v8, s24, v5
	v_cmp_le_u32_e32 vcc_lo, s24, v5
	s_wait_alu 0xfffd
	s_delay_alu instid0(VALU_DEP_2) | instskip(NEXT) | instid1(VALU_DEP_1)
	v_dual_cndmask_b32 v5, v5, v8 :: v_dual_cndmask_b32 v4, v4, v6
	v_cmp_le_u32_e32 vcc_lo, s24, v5
	s_delay_alu instid0(VALU_DEP_2) | instskip(SKIP_1) | instid1(VALU_DEP_1)
	v_add_nc_u32_e32 v6, 1, v4
	s_wait_alu 0xfffd
	v_dual_cndmask_b32 v5, v4, v6 :: v_dual_mov_b32 v6, v7
.LBB0_6:                                ;   in Loop: Header=BB0_2 Depth=1
	s_wait_alu 0xfffe
	s_or_b32 exec_lo, exec_lo, s2
	s_delay_alu instid0(VALU_DEP_1) | instskip(NEXT) | instid1(VALU_DEP_2)
	v_mul_lo_u32 v4, v6, s24
	v_mul_lo_u32 v8, v5, s25
	s_load_b64 s[26:27], s[18:19], 0x0
	v_mad_co_u64_u32 v[11:12], null, v5, s24, 0
	s_load_b64 s[24:25], s[16:17], 0x0
	s_add_nc_u64 s[20:21], s[20:21], 1
	s_add_nc_u64 s[16:17], s[16:17], 8
	s_wait_alu 0xfffe
	v_cmp_ge_u64_e64 s2, s[20:21], s[10:11]
	s_add_nc_u64 s[18:19], s[18:19], 8
	s_add_nc_u64 s[22:23], s[22:23], 8
	v_add3_u32 v4, v12, v8, v4
	v_sub_co_u32 v8, vcc_lo, v9, v11
	s_wait_alu 0xfffd
	s_delay_alu instid0(VALU_DEP_2) | instskip(SKIP_2) | instid1(VALU_DEP_1)
	v_sub_co_ci_u32_e32 v4, vcc_lo, v10, v4, vcc_lo
	s_and_b32 vcc_lo, exec_lo, s2
	s_wait_kmcnt 0x0
	v_mul_lo_u32 v9, s26, v4
	v_mul_lo_u32 v10, s27, v8
	v_mad_co_u64_u32 v[17:18], null, s26, v8, v[17:18]
	v_mul_lo_u32 v4, s24, v4
	v_mul_lo_u32 v11, s25, v8
	v_mad_co_u64_u32 v[1:2], null, s24, v8, v[1:2]
	s_delay_alu instid0(VALU_DEP_4) | instskip(NEXT) | instid1(VALU_DEP_2)
	v_add3_u32 v18, v10, v18, v9
	v_add3_u32 v2, v11, v2, v4
	s_wait_alu 0xfffe
	s_cbranch_vccnz .LBB0_8
; %bb.7:                                ;   in Loop: Header=BB0_2 Depth=1
	v_dual_mov_b32 v10, v6 :: v_dual_mov_b32 v9, v5
	s_branch .LBB0_2
.LBB0_8:
	s_load_b64 s[0:1], s[0:1], 0x28
	v_mul_hi_u32 v4, 0xcccccccd, v3
	v_mul_hi_u32 v20, 0xaaaaaab, v0
	s_lshl_b64 s[10:11], s[10:11], 3
                                        ; implicit-def: $vgpr7
                                        ; implicit-def: $vgpr13
                                        ; implicit-def: $vgpr11
                                        ; implicit-def: $vgpr15
                                        ; implicit-def: $vgpr9
	s_delay_alu instid0(VALU_DEP_2) | instskip(NEXT) | instid1(VALU_DEP_1)
	v_lshrrev_b32_e32 v4, 2, v4
	v_lshl_add_u32 v4, v4, 2, v4
	s_delay_alu instid0(VALU_DEP_1) | instskip(SKIP_3) | instid1(VALU_DEP_1)
	v_sub_nc_u32_e32 v19, v3, v4
	s_wait_kmcnt 0x0
	v_cmp_gt_u64_e32 vcc_lo, s[0:1], v[5:6]
	v_cmp_le_u64_e64 s0, s[0:1], v[5:6]
                                        ; implicit-def: $vgpr3
	s_and_saveexec_b32 s1, s0
	s_wait_alu 0xfffe
	s_xor_b32 s0, exec_lo, s1
; %bb.9:
	v_mul_u32_u24_e32 v3, 24, v20
                                        ; implicit-def: $vgpr20
                                        ; implicit-def: $vgpr17_vgpr18
	s_delay_alu instid0(VALU_DEP_1) | instskip(SKIP_1) | instid1(VALU_DEP_1)
	v_sub_nc_u32_e32 v3, v0, v3
	v_mov_b32_e32 v4, 0
                                        ; implicit-def: $vgpr0
	v_dual_mov_b32 v8, v4 :: v_dual_add_nc_u32 v7, 24, v3
	v_dual_mov_b32 v14, v4 :: v_dual_add_nc_u32 v13, 48, v3
	;; [unrolled: 1-line block ×3, first 2 shown]
	v_add_nc_u32_e32 v9, 0x78, v3
	v_or_b32_e32 v11, 0x60, v3
	v_mov_b32_e32 v12, v4
	v_mov_b32_e32 v10, v4
; %bb.10:
	s_wait_alu 0xfffe
	s_or_saveexec_b32 s1, s0
	v_mul_u32_u24_e32 v19, 0x121, v19
	s_add_nc_u64 s[2:3], s[14:15], s[10:11]
	s_delay_alu instid0(VALU_DEP_1)
	v_lshlrev_b32_e32 v23, 2, v19
	s_wait_alu 0xfffe
	s_xor_b32 exec_lo, exec_lo, s1
	s_cbranch_execz .LBB0_12
; %bb.11:
	s_add_nc_u64 s[10:11], s[12:13], s[10:11]
	v_mul_u32_u24_e32 v11, 24, v20
	s_load_b64 s[10:11], s[10:11], 0x0
	v_lshlrev_b64_e32 v[9:10], 2, v[17:18]
	s_wait_kmcnt 0x0
	v_mul_lo_u32 v7, s11, v5
	v_mul_lo_u32 v8, s10, v6
	v_mad_co_u64_u32 v[3:4], null, s10, v5, 0
	s_delay_alu instid0(VALU_DEP_1) | instskip(NEXT) | instid1(VALU_DEP_1)
	v_add3_u32 v4, v4, v8, v7
	v_lshlrev_b64_e32 v[7:8], 2, v[3:4]
	v_sub_nc_u32_e32 v3, v0, v11
	s_delay_alu instid0(VALU_DEP_1) | instskip(NEXT) | instid1(VALU_DEP_3)
	v_lshlrev_b32_e32 v11, 2, v3
	v_add_co_u32 v0, s0, s4, v7
	s_wait_alu 0xf1ff
	s_delay_alu instid0(VALU_DEP_4) | instskip(SKIP_1) | instid1(VALU_DEP_3)
	v_add_co_ci_u32_e64 v4, s0, s5, v8, s0
	v_add_nc_u32_e32 v13, 48, v3
	v_add_co_u32 v0, s0, v0, v9
	s_wait_alu 0xf1ff
	s_delay_alu instid0(VALU_DEP_3) | instskip(SKIP_1) | instid1(VALU_DEP_3)
	v_add_co_ci_u32_e64 v4, s0, v4, v10, s0
	v_add_nc_u32_e32 v15, 0x48, v3
	v_add_co_u32 v7, s0, v0, v11
	s_wait_alu 0xf1ff
	s_delay_alu instid0(VALU_DEP_3)
	v_add_co_ci_u32_e64 v8, s0, 0, v4, s0
	v_mov_b32_e32 v4, 0
	s_clause 0xb
	global_load_b32 v0, v[7:8], off
	global_load_b32 v17, v[7:8], off offset:96
	global_load_b32 v18, v[7:8], off offset:192
	;; [unrolled: 1-line block ×11, first 2 shown]
	v_dual_mov_b32 v8, v4 :: v_dual_add_nc_u32 v7, 24, v3
	v_mov_b32_e32 v14, v4
	v_mov_b32_e32 v16, v4
	v_dual_mov_b32 v12, v4 :: v_dual_add_nc_u32 v9, 0x78, v3
	v_mov_b32_e32 v10, v4
	v_add3_u32 v29, 0, v23, v11
	v_or_b32_e32 v11, 0x60, v3
	s_delay_alu instid0(VALU_DEP_2)
	v_add_nc_u32_e32 v30, 0x200, v29
	s_wait_loadcnt 0xa
	ds_store_2addr_b32 v29, v0, v17 offset1:24
	s_wait_loadcnt 0x8
	ds_store_2addr_b32 v29, v18, v19 offset0:48 offset1:72
	s_wait_loadcnt 0x6
	ds_store_2addr_b32 v29, v20, v21 offset0:96 offset1:120
	;; [unrolled: 2-line block ×5, first 2 shown]
.LBB0_12:
	s_or_b32 exec_lo, exec_lo, s1
	v_lshlrev_b32_e32 v21, 2, v3
	v_add_nc_u32_e32 v0, 0, v23
	s_load_b64 s[2:3], s[2:3], 0x0
	global_wb scope:SCOPE_SE
	s_wait_dscnt 0x0
	s_wait_kmcnt 0x0
	s_barrier_signal -1
	v_add3_u32 v22, 0, v21, v23
	v_add_nc_u32_e32 v20, v0, v21
	s_barrier_wait -1
	global_inv scope:SCOPE_SE
	v_mul_i32_i24_e32 v33, 6, v7
	ds_load_2addr_b32 v[17:18], v22 offset0:24 offset1:48
	ds_load_2addr_b32 v[24:25], v22 offset0:72 offset1:96
	;; [unrolled: 1-line block ×4, first 2 shown]
	ds_load_b32 v19, v20
	ds_load_2addr_b32 v[30:31], v22 offset0:216 offset1:240
	ds_load_b32 v32, v22 offset:1056
	global_wb scope:SCOPE_SE
	s_wait_dscnt 0x0
	s_barrier_signal -1
	s_barrier_wait -1
	v_lshl_add_u32 v38, v33, 2, v0
	v_mad_u32_u24 v33, v3, 20, v22
	global_inv scope:SCOPE_SE
	v_cmp_gt_u32_e64 s0, 12, v3
	v_pk_add_f16 v37, v18, v27
	v_pk_add_f16 v39, v25, v29
	;; [unrolled: 1-line block ×4, first 2 shown]
	v_pk_add_f16 v27, v27, v31 neg_lo:[0,1] neg_hi:[0,1]
	v_pk_add_f16 v25, v25, v29 neg_lo:[0,1] neg_hi:[0,1]
	v_pk_add_f16 v41, v26, v30
	v_pk_add_f16 v29, v36, v29
	v_pk_fma_f16 v18, v40, 0.5, v18 op_sel_hi:[1,0,1] neg_lo:[1,0,0] neg_hi:[1,0,0]
	v_pk_fma_f16 v19, v39, 0.5, v19 op_sel_hi:[1,0,1] neg_lo:[1,0,0] neg_hi:[1,0,0]
	v_pk_add_f16 v34, v17, v26
	v_pk_add_f16 v31, v37, v31
	v_pk_fma_f16 v17, v41, 0.5, v17 op_sel_hi:[1,0,1] neg_lo:[1,0,0] neg_hi:[1,0,0]
	v_pk_fma_f16 v36, 0x3aee, v27, v18 op_sel:[0,0,1] op_sel_hi:[0,1,0] neg_lo:[0,1,0] neg_hi:[0,1,0]
	v_pk_fma_f16 v18, 0x3aee, v27, v18 op_sel:[0,0,1] op_sel_hi:[0,1,0]
	v_pk_fma_f16 v37, 0x3aee, v25, v19 op_sel:[0,0,1] op_sel_hi:[0,1,0] neg_lo:[0,1,0] neg_hi:[0,1,0]
	v_pk_add_f16 v42, v28, v32
	v_pk_fma_f16 v19, 0x3aee, v25, v19 op_sel:[0,0,1] op_sel_hi:[0,1,0]
	v_pk_mul_f16 v27, 0x3aee, v36 op_sel_hi:[0,1]
	v_lshrrev_b32_e32 v39, 16, v36
	v_lshrrev_b32_e32 v40, 16, v18
	v_mul_f16_e32 v36, -0.5, v36
	v_lshrrev_b32_e32 v25, 16, v37
	v_pk_fma_f16 v41, 0xb8003800, v18, v27 op_sel:[0,0,1] op_sel_hi:[1,1,0]
	v_pk_fma_f16 v27, 0xb8003800, v18, v27 op_sel:[0,0,1] op_sel_hi:[1,1,0] neg_lo:[0,0,1] neg_hi:[0,0,1]
	v_mul_f16_e32 v18, 0xbaee, v18
	v_fmac_f16_e32 v36, 0x3aee, v40
	v_pk_add_f16 v35, v24, v28
	v_pk_fma_f16 v24, v42, 0.5, v24 op_sel_hi:[1,0,1] neg_lo:[1,0,0] neg_hi:[1,0,0]
	v_bfi_b32 v40, 0xffff, v41, v27
	v_fmac_f16_e32 v18, 0.5, v39
	v_add_f16_e32 v43, v37, v36
	v_pk_add_f16 v28, v28, v32 neg_lo:[0,1] neg_hi:[0,1]
	v_pk_add_f16 v42, v29, v31
	v_pk_add_f16 v40, v19, v40
	v_add_f16_e32 v25, v25, v18
	v_pk_add_f16 v29, v29, v31 neg_lo:[0,1] neg_hi:[0,1]
	v_alignbit_b32 v31, v19, v37, 16
	v_pack_b32_f16 v18, v18, v41
	v_pk_add_f16 v34, v34, v30
	v_alignbit_b32 v41, v43, v40, 16
	v_pack_b32_f16 v25, v25, v40
	v_pk_add_f16 v26, v26, v30 neg_lo:[0,1] neg_hi:[0,1]
	v_pk_fma_f16 v30, 0x3aee, v28, v24 op_sel:[0,0,1] op_sel_hi:[0,1,0] neg_lo:[0,1,0] neg_hi:[0,1,0]
	v_pk_add_f16 v18, v31, v18 neg_lo:[0,1] neg_hi:[0,1]
	v_alignbit_b32 v19, v37, v19, 16
	v_alignbit_b32 v27, v36, v27, 16
	ds_store_2addr_b32 v33, v25, v41 offset0:1 offset1:2
	ds_store_2addr_b32 v33, v29, v18 offset0:3 offset1:4
	v_pk_fma_f16 v18, 0x3aee, v28, v24 op_sel:[0,0,1] op_sel_hi:[0,1,0]
	v_pk_mul_f16 v24, 0x3aee, v30 op_sel_hi:[0,1]
	v_and_b32_e32 v28, 0xff, v3
	v_pk_fma_f16 v31, 0x3aee, v26, v17 op_sel:[0,0,1] op_sel_hi:[0,1,0] neg_lo:[0,1,0] neg_hi:[0,1,0]
	v_pk_add_f16 v19, v19, v27 neg_lo:[0,1] neg_hi:[0,1]
	v_pk_fma_f16 v17, 0x3aee, v26, v17 op_sel:[0,0,1] op_sel_hi:[0,1,0]
	v_lshrrev_b32_e32 v26, 16, v30
	v_pk_fma_f16 v27, 0xb8003800, v18, v24 op_sel:[0,0,1] op_sel_hi:[1,1,0]
	v_pk_fma_f16 v24, 0xb8003800, v18, v24 op_sel:[0,0,1] op_sel_hi:[1,1,0] neg_lo:[0,0,1] neg_hi:[0,0,1]
	v_lshrrev_b32_e32 v29, 16, v18
	v_mul_f16_e32 v30, -0.5, v30
	v_and_b32_e32 v36, 0xff, v7
	v_mul_lo_u16 v28, 0xab, v28
	v_pk_add_f16 v35, v35, v32
	v_mul_f16_e32 v18, 0xbaee, v18
	v_bfi_b32 v32, 0xffff, v27, v24
	v_fmac_f16_e32 v30, 0x3aee, v29
	v_mul_lo_u16 v29, 0xab, v36
	v_lshrrev_b16 v28, 10, v28
	v_fmac_f16_e32 v18, 0.5, v26
	v_pk_add_f16 v26, v17, v32
	v_add_f16_e32 v32, v31, v30
	v_lshrrev_b16 v40, 10, v29
	v_lshrrev_b32_e32 v25, 16, v31
	ds_store_2addr_b32 v33, v42, v19 offset1:5
	v_mul_lo_u16 v19, v28, 6
	v_alignbit_b32 v29, v32, v26, 16
	v_mul_lo_u16 v32, v40, 6
	v_add_f16_e32 v25, v25, v18
	v_pack_b32_f16 v18, v18, v27
	v_sub_nc_u16 v19, v3, v19
	v_alignbit_b32 v24, v30, v24, 16
	v_sub_nc_u16 v27, v7, v32
	v_pack_b32_f16 v25, v25, v26
	v_alignbit_b32 v26, v17, v31, 16
	v_alignbit_b32 v17, v31, v17, 16
	v_and_b32_e32 v19, 0xff, v19
	v_and_b32_e32 v44, 0xff, v27
	v_pk_add_f16 v30, v34, v35 neg_lo:[0,1] neg_hi:[0,1]
	v_pk_add_f16 v18, v26, v18 neg_lo:[0,1] neg_hi:[0,1]
	v_pk_add_f16 v39, v34, v35
	v_pk_add_f16 v17, v17, v24 neg_lo:[0,1] neg_hi:[0,1]
	v_mul_u32_u24_e32 v24, 5, v19
	ds_store_2addr_b32 v38, v25, v29 offset0:1 offset1:2
	ds_store_2addr_b32 v38, v30, v18 offset0:3 offset1:4
	ds_store_2addr_b32 v38, v39, v17 offset1:5
	v_mul_u32_u24_e32 v17, 5, v44
	global_wb scope:SCOPE_SE
	s_wait_dscnt 0x0
	v_lshlrev_b32_e32 v18, 2, v24
	s_barrier_signal -1
	s_barrier_wait -1
	v_lshlrev_b32_e32 v17, 2, v17
	global_inv scope:SCOPE_SE
	s_clause 0x3
	global_load_b128 v[30:33], v18, s[8:9]
	global_load_b32 v45, v18, s[8:9] offset:16
	global_load_b128 v[34:37], v17, s[8:9]
	global_load_b32 v46, v17, s[8:9] offset:16
	v_mov_b32_e32 v18, 0
	v_mul_u32_u24_e32 v29, 3, v3
	v_and_b32_e32 v39, 0xffff, v28
	v_lshl_add_u32 v27, v13, 2, v0
	v_lshl_add_u32 v25, v11, 2, v0
	v_mad_i32_i24 v28, 0xffffffec, v7, v38
	v_lshlrev_b32_e32 v48, 2, v29
	v_add_nc_u32_e32 v29, 0x200, v22
	v_lshl_add_u32 v26, v15, 2, v0
	v_lshl_add_u32 v24, v9, 2, v0
	v_and_b32_e32 v49, 0xffff, v40
	v_mad_u32_u24 v50, 0x90, v39, 0
	ds_load_2addr_b32 v[38:39], v29 offset0:112 offset1:136
	ds_load_b32 v51, v20
	ds_load_b32 v52, v27
	;; [unrolled: 1-line block ×6, first 2 shown]
	ds_load_2addr_b32 v[40:41], v22 offset0:144 offset1:168
	ds_load_2addr_b32 v[42:43], v22 offset0:192 offset1:216
	v_lshlrev_b32_e32 v19, 2, v19
	v_lshlrev_b32_e32 v44, 2, v44
	v_mad_u32_u24 v49, 0x90, v49, 0
	v_add_nc_u32_e32 v17, -12, v3
	global_wb scope:SCOPE_SE
	s_wait_loadcnt_dscnt 0x0
	v_add3_u32 v19, v50, v19, v23
	s_barrier_signal -1
	v_add3_u32 v44, v49, v44, v23
	s_wait_alu 0xf1ff
	v_cndmask_b32_e64 v47, v17, v7, s0
	s_barrier_wait -1
	global_inv scope:SCOPE_SE
	v_lshrrev_b32_e32 v50, 16, v38
	v_lshrrev_b32_e32 v62, 16, v39
	;; [unrolled: 1-line block ×12, first 2 shown]
	v_mul_i32_i24_e32 v17, 3, v47
	v_lshlrev_b32_e32 v47, 2, v47
	s_delay_alu instid0(VALU_DEP_2) | instskip(NEXT) | instid1(VALU_DEP_1)
	v_lshlrev_b64_e32 v[17:18], 2, v[17:18]
	v_add_co_u32 v17, s0, s8, v17
	s_wait_alu 0xf1ff
	s_delay_alu instid0(VALU_DEP_2)
	v_add_co_ci_u32_e64 v18, s0, s9, v18, s0
	v_cmp_lt_u32_e64 s0, 11, v3
	v_lshrrev_b32_e32 v67, 16, v30
	v_lshrrev_b32_e32 v69, 16, v32
	;; [unrolled: 1-line block ×10, first 2 shown]
	v_mul_f16_e32 v77, v67, v63
	v_mul_f16_e32 v67, v67, v52
	;; [unrolled: 1-line block ×19, first 2 shown]
	v_fmac_f16_e32 v77, v30, v52
	v_fma_f16 v30, v30, v63, -v67
	v_fmac_f16_e32 v79, v32, v40
	v_fma_f16 v32, v32, v65, -v69
	;; [unrolled: 2-line block ×3, first 2 shown]
	v_mul_f16_e32 v70, v70, v42
	v_fmac_f16_e32 v78, v31, v53
	v_fmac_f16_e32 v80, v33, v42
	;; [unrolled: 1-line block ×3, first 2 shown]
	v_fma_f16 v34, v58, v34, -v72
	v_fmac_f16_e32 v84, v41, v36
	v_fma_f16 v36, v60, v36, -v74
	v_fmac_f16_e32 v86, v39, v46
	v_fma_f16 v39, v62, v46, -v76
	v_fma_f16 v31, v31, v64, -v68
	v_fmac_f16_e32 v83, v56, v35
	v_fma_f16 v35, v59, v35, -v73
	v_fmac_f16_e32 v85, v43, v37
	v_fma_f16 v37, v61, v37, -v75
	v_sub_f16_e32 v52, v32, v38
	v_add_f16_e32 v53, v30, v32
	v_add_f16_e32 v32, v32, v38
	v_fma_f16 v33, v33, v66, -v70
	v_add_f16_e32 v41, v78, v80
	v_add_f16_e32 v50, v79, v81
	v_sub_f16_e32 v64, v36, v39
	v_add_f16_e32 v65, v34, v36
	v_add_f16_e32 v36, v36, v39
	;; [unrolled: 1-line block ×3, first 2 shown]
	v_sub_f16_e32 v55, v79, v81
	v_add_f16_e32 v56, v54, v83
	v_sub_f16_e32 v59, v35, v37
	v_add_f16_e32 v60, v57, v35
	v_add_f16_e32 v35, v35, v37
	;; [unrolled: 1-line block ×3, first 2 shown]
	v_fmac_f16_e32 v30, -0.5, v32
	v_add_f16_e32 v40, v51, v78
	v_sub_f16_e32 v42, v31, v33
	v_add_f16_e32 v46, v77, v79
	v_add_f16_e32 v63, v84, v86
	v_sub_f16_e32 v66, v84, v86
	v_fmac_f16_e32 v51, -0.5, v41
	v_fmac_f16_e32 v77, -0.5, v50
	;; [unrolled: 1-line block ×3, first 2 shown]
	v_add_f16_e32 v31, v31, v33
	v_add_f16_e32 v33, v43, v33
	;; [unrolled: 1-line block ×4, first 2 shown]
	v_fmac_f16_e32 v57, -0.5, v35
	v_add_f16_e32 v35, v62, v86
	v_add_f16_e32 v39, v65, v39
	v_fmamk_f16 v43, v55, 0x3aee, v30
	v_fmac_f16_e32 v30, 0xbaee, v55
	v_add_f16_e32 v58, v83, v85
	v_fmac_f16_e32 v82, -0.5, v63
	v_fmamk_f16 v36, v42, 0xbaee, v51
	v_fmac_f16_e32 v51, 0x3aee, v42
	v_fmamk_f16 v42, v52, 0xbaee, v77
	v_fmac_f16_e32 v77, 0x3aee, v52
	;; [unrolled: 2-line block ×3, first 2 shown]
	v_sub_f16_e32 v45, v78, v80
	v_add_f16_e32 v40, v40, v80
	v_fmac_f16_e32 v49, -0.5, v31
	v_add_f16_e32 v31, v46, v81
	v_add_f16_e32 v38, v53, v38
	;; [unrolled: 1-line block ×4, first 2 shown]
	v_sub_f16_e32 v32, v32, v35
	v_sub_f16_e32 v35, v37, v39
	v_mul_f16_e32 v37, 0xbaee, v43
	v_mul_f16_e32 v43, 0.5, v43
	v_mul_f16_e32 v39, 0xbaee, v30
	v_mul_f16_e32 v30, -0.5, v30
	v_sub_f16_e32 v61, v83, v85
	v_fmac_f16_e32 v54, -0.5, v58
	v_fmamk_f16 v50, v64, 0xbaee, v82
	v_mul_f16_e32 v56, 0xbaee, v52
	v_mul_f16_e32 v52, 0.5, v52
	v_fmac_f16_e32 v82, 0x3aee, v64
	v_mul_f16_e32 v58, 0xbaee, v34
	v_mul_f16_e32 v34, -0.5, v34
	v_fmamk_f16 v41, v45, 0x3aee, v49
	v_fmac_f16_e32 v49, 0xbaee, v45
	v_add_f16_e32 v45, v40, v31
	v_add_f16_e32 v46, v33, v38
	v_fmac_f16_e32 v37, 0.5, v42
	v_fmac_f16_e32 v43, 0x3aee, v42
	v_fmac_f16_e32 v39, -0.5, v77
	v_fmac_f16_e32 v30, 0x3aee, v77
	v_sub_f16_e32 v31, v40, v31
	v_sub_f16_e32 v33, v33, v38
	v_fmamk_f16 v38, v59, 0xbaee, v54
	v_fmamk_f16 v40, v61, 0x3aee, v57
	v_fmac_f16_e32 v56, 0.5, v50
	v_fmac_f16_e32 v52, 0x3aee, v50
	v_fmac_f16_e32 v54, 0x3aee, v59
	;; [unrolled: 1-line block ×3, first 2 shown]
	v_fmac_f16_e32 v58, -0.5, v82
	v_fmac_f16_e32 v34, 0x3aee, v82
	v_pack_b32_f16 v45, v45, v46
	v_pack_b32_f16 v32, v32, v35
	v_add_f16_e32 v35, v36, v37
	v_add_f16_e32 v46, v41, v43
	;; [unrolled: 1-line block ×4, first 2 shown]
	v_sub_f16_e32 v36, v36, v37
	v_sub_f16_e32 v37, v51, v39
	;; [unrolled: 1-line block ×4, first 2 shown]
	v_add_f16_e32 v41, v38, v56
	v_add_f16_e32 v49, v40, v52
	v_pack_b32_f16 v31, v31, v33
	v_pack_b32_f16 v33, v53, v55
	v_add_f16_e32 v43, v54, v58
	v_add_f16_e32 v51, v57, v34
	v_sub_f16_e32 v38, v38, v56
	v_sub_f16_e32 v53, v54, v58
	;; [unrolled: 1-line block ×4, first 2 shown]
	v_pack_b32_f16 v35, v35, v46
	v_pack_b32_f16 v42, v42, v50
	;; [unrolled: 1-line block ×8, first 2 shown]
	ds_store_2addr_b32 v19, v45, v35 offset1:6
	ds_store_2addr_b32 v19, v42, v31 offset0:12 offset1:18
	ds_store_2addr_b32 v19, v36, v30 offset0:24 offset1:30
	ds_store_2addr_b32 v44, v33, v37 offset1:6
	ds_store_2addr_b32 v44, v39, v32 offset0:12 offset1:18
	ds_store_2addr_b32 v44, v38, v34 offset0:24 offset1:30
	global_wb scope:SCOPE_SE
	s_wait_dscnt 0x0
	s_barrier_signal -1
	s_barrier_wait -1
	global_inv scope:SCOPE_SE
	s_clause 0x2
	global_load_b96 v[30:32], v48, s[8:9] offset:120
	global_load_b96 v[33:35], v[17:18], off offset:120
	global_load_b96 v[36:38], v48, s[8:9] offset:264
	v_lshlrev_b64_e32 v[18:19], 2, v[3:4]
	v_lshlrev_b64_e32 v[39:40], 2, v[7:8]
	s_wait_alu 0xf1ff
	v_cndmask_b32_e64 v17, 0, 0x240, s0
	v_lshlrev_b64_e32 v[41:42], 2, v[13:14]
	v_lshlrev_b64_e32 v[43:44], 2, v[15:16]
	;; [unrolled: 1-line block ×3, first 2 shown]
	v_add_co_u32 v18, s0, s8, v18
	s_wait_alu 0xf1ff
	v_add_co_ci_u32_e64 v19, s0, s9, v19, s0
	v_add_co_u32 v16, s0, s8, v39
	v_add_nc_u32_e32 v4, 0, v17
	s_wait_alu 0xf1ff
	v_add_co_ci_u32_e64 v17, s0, s9, v40, s0
	v_add_co_u32 v14, s0, s8, v41
	s_wait_alu 0xf1ff
	v_add_co_ci_u32_e64 v15, s0, s9, v42, s0
	v_add_co_u32 v12, s0, s8, v43
	s_wait_alu 0xf1ff
	v_add_co_ci_u32_e64 v13, s0, s9, v44, s0
	v_lshlrev_b64_e32 v[8:9], 2, v[9:10]
	v_add_co_u32 v10, s0, s8, v45
	ds_load_2addr_b32 v[39:40], v22 offset0:192 offset1:216
	ds_load_2addr_b32 v[41:42], v29 offset0:112 offset1:136
	ds_load_b32 v48, v24
	s_wait_alu 0xf1ff
	v_add_co_ci_u32_e64 v11, s0, s9, v46, s0
	ds_load_b32 v45, v26
	ds_load_2addr_b32 v[43:44], v22 offset0:144 offset1:168
	ds_load_b32 v46, v28
	ds_load_b32 v49, v25
	;; [unrolled: 1-line block ×4, first 2 shown]
	v_add3_u32 v4, v4, v47, v23
	v_add_co_u32 v8, s0, s8, v8
	s_wait_alu 0xf1ff
	v_add_co_ci_u32_e64 v9, s0, s9, v9, s0
	global_wb scope:SCOPE_SE
	s_wait_loadcnt_dscnt 0x0
	s_barrier_signal -1
	s_barrier_wait -1
	global_inv scope:SCOPE_SE
	v_cmp_ne_u32_e64 s0, 0, v3
	v_lshrrev_b32_e32 v56, 16, v40
	v_lshrrev_b32_e32 v23, 16, v41
	;; [unrolled: 1-line block ×21, first 2 shown]
	v_mul_f16_e32 v71, v62, v54
	v_mul_f16_e32 v62, v62, v45
	v_mul_f16_e32 v72, v63, v55
	v_mul_f16_e32 v63, v63, v43
	v_mul_f16_e32 v73, v64, v56
	v_mul_f16_e32 v64, v64, v40
	v_mul_f16_e32 v74, v65, v57
	v_mul_f16_e32 v65, v65, v49
	v_mul_f16_e32 v75, v66, v58
	v_mul_f16_e32 v66, v66, v44
	v_mul_f16_e32 v76, v23, v67
	v_mul_f16_e32 v67, v41, v67
	v_mul_f16_e32 v77, v47, v68
	v_mul_f16_e32 v68, v48, v68
	v_mul_f16_e32 v78, v52, v69
	v_mul_f16_e32 v69, v39, v69
	v_mul_f16_e32 v79, v53, v70
	v_mul_f16_e32 v70, v42, v70
	v_fmac_f16_e32 v71, v30, v45
	v_fma_f16 v30, v30, v54, -v62
	v_fmac_f16_e32 v72, v31, v43
	v_fma_f16 v31, v31, v55, -v63
	;; [unrolled: 2-line block ×9, first 2 shown]
	v_sub_f16_e32 v38, v50, v72
	v_sub_f16_e32 v31, v59, v31
	;; [unrolled: 1-line block ×12, first 2 shown]
	v_fma_f16 v44, v50, 2.0, -v38
	v_fma_f16 v45, v59, 2.0, -v31
	;; [unrolled: 1-line block ×12, first 2 shown]
	v_add_f16_e32 v32, v38, v32
	v_sub_f16_e32 v39, v31, v39
	v_add_f16_e32 v23, v40, v23
	v_sub_f16_e32 v41, v34, v41
	v_sub_f16_e32 v47, v44, v47
	;; [unrolled: 1-line block ×3, first 2 shown]
	v_add_f16_e32 v37, v42, v37
	v_sub_f16_e32 v43, v36, v43
	v_sub_f16_e32 v49, v46, v49
	;; [unrolled: 1-line block ×5, first 2 shown]
	v_fma_f16 v38, v38, 2.0, -v32
	v_fma_f16 v31, v31, 2.0, -v39
	;; [unrolled: 1-line block ×4, first 2 shown]
	v_pack_b32_f16 v32, v32, v39
	v_pack_b32_f16 v23, v23, v41
	v_fma_f16 v39, v44, 2.0, -v47
	v_fma_f16 v41, v45, 2.0, -v30
	;; [unrolled: 1-line block ×4, first 2 shown]
	v_pack_b32_f16 v37, v37, v43
	v_fma_f16 v43, v46, 2.0, -v49
	v_fma_f16 v44, v48, 2.0, -v33
	;; [unrolled: 1-line block ×4, first 2 shown]
	v_pack_b32_f16 v30, v47, v30
	v_pack_b32_f16 v31, v38, v31
	;; [unrolled: 1-line block ×9, first 2 shown]
	ds_store_2addr_b32 v22, v30, v32 offset0:72 offset1:108
	ds_store_2addr_b32 v22, v38, v31 offset1:36
	ds_store_2addr_b32 v4, v39, v34 offset1:36
	ds_store_2addr_b32 v4, v33, v23 offset0:72 offset1:108
	ds_store_2addr_b32 v22, v40, v36 offset0:156 offset1:192
	;; [unrolled: 1-line block ×3, first 2 shown]
	global_wb scope:SCOPE_SE
	s_wait_dscnt 0x0
	s_barrier_signal -1
	s_barrier_wait -1
	global_inv scope:SCOPE_SE
	s_clause 0x5
	global_load_b32 v4, v[18:19], off offset:552
	global_load_b32 v23, v[8:9], off offset:552
	;; [unrolled: 1-line block ×6, first 2 shown]
	ds_load_2addr_b32 v[30:31], v22 offset0:144 offset1:168
	ds_load_2addr_b32 v[32:33], v29 offset0:112 offset1:136
	;; [unrolled: 1-line block ×3, first 2 shown]
	ds_load_b32 v29, v20
	ds_load_b32 v40, v27
	ds_load_b32 v41, v26
	ds_load_b32 v42, v24
	ds_load_b32 v43, v28
	ds_load_b32 v44, v25
	global_wb scope:SCOPE_SE
	s_wait_loadcnt_dscnt 0x0
	s_barrier_signal -1
	s_barrier_wait -1
	global_inv scope:SCOPE_SE
	v_pk_mul_f16 v45, v4, v30 op_sel:[0,1]
	v_pk_mul_f16 v46, v33, v23 op_sel:[0,1]
	;; [unrolled: 1-line block ×6, first 2 shown]
	v_pk_fma_f16 v51, v4, v30, v45 op_sel:[0,0,1] op_sel_hi:[1,1,0]
	v_pk_fma_f16 v4, v4, v30, v45 op_sel:[0,0,1] op_sel_hi:[1,0,0] neg_lo:[1,0,0] neg_hi:[1,0,0]
	v_pk_fma_f16 v30, v33, v23, v46 op_sel:[0,0,1] op_sel_hi:[1,1,0]
	v_pk_fma_f16 v23, v33, v23, v46 op_sel:[0,0,1] op_sel_hi:[1,0,0] neg_lo:[0,0,1] neg_hi:[0,0,1]
	;; [unrolled: 2-line block ×6, first 2 shown]
	v_bfi_b32 v4, 0xffff, v51, v4
	v_bfi_b32 v23, 0xffff, v30, v23
	;; [unrolled: 1-line block ×6, first 2 shown]
	v_pk_add_f16 v4, v29, v4 neg_lo:[0,1] neg_hi:[0,1]
	v_pk_add_f16 v30, v44, v30 neg_lo:[0,1] neg_hi:[0,1]
	;; [unrolled: 1-line block ×6, first 2 shown]
	v_pk_fma_f16 v29, v29, 2.0, v4 op_sel_hi:[1,0,1] neg_lo:[0,0,1] neg_hi:[0,0,1]
	v_pk_fma_f16 v36, v40, 2.0, v33 op_sel_hi:[1,0,1] neg_lo:[0,0,1] neg_hi:[0,0,1]
	;; [unrolled: 1-line block ×6, first 2 shown]
	ds_store_2addr_b32 v22, v29, v4 offset1:144
	ds_store_2addr_b32 v28, v35, v31 offset1:144
	;; [unrolled: 1-line block ×6, first 2 shown]
	global_wb scope:SCOPE_SE
	s_wait_dscnt 0x0
	s_barrier_signal -1
	s_barrier_wait -1
	global_inv scope:SCOPE_SE
	ds_load_b32 v28, v20
	v_sub_nc_u32_e32 v4, v0, v21
                                        ; implicit-def: $vgpr22
                                        ; implicit-def: $vgpr21
                                        ; implicit-def: $vgpr23
	s_and_saveexec_b32 s1, s0
	s_wait_alu 0xfffe
	s_xor_b32 s0, exec_lo, s1
	s_cbranch_execz .LBB0_14
; %bb.13:
	global_load_b32 v18, v[18:19], off offset:1128
	ds_load_b32 v19, v4 offset:1152
	s_wait_dscnt 0x0
	v_pk_add_f16 v21, v28, v19 neg_lo:[0,1] neg_hi:[0,1]
	v_pk_add_f16 v19, v19, v28
	s_delay_alu instid0(VALU_DEP_1) | instskip(SKIP_1) | instid1(VALU_DEP_2)
	v_bfi_b32 v22, 0xffff, v21, v19
	v_bfi_b32 v19, 0xffff, v19, v21
	v_pk_mul_f16 v22, v22, 0.5 op_sel_hi:[1,0]
	s_delay_alu instid0(VALU_DEP_2) | instskip(SKIP_1) | instid1(VALU_DEP_2)
	v_pk_mul_f16 v23, v19, 0.5 op_sel_hi:[1,0]
	s_wait_loadcnt 0x0
	v_pk_mul_f16 v21, v18, v22 op_sel:[1,0]
	v_pk_mul_f16 v18, v18, v22 op_sel_hi:[0,1]
	s_delay_alu instid0(VALU_DEP_3) | instskip(NEXT) | instid1(VALU_DEP_3)
	v_lshrrev_b32_e32 v22, 16, v23
	v_pk_fma_f16 v19, v19, 0.5, v21 op_sel_hi:[1,0,1]
	v_lshrrev_b32_e32 v28, 16, v21
	v_sub_f16_e32 v21, v23, v21
	v_lshrrev_b32_e32 v23, 16, v18
	s_delay_alu instid0(VALU_DEP_4) | instskip(SKIP_2) | instid1(VALU_DEP_4)
	v_pk_add_f16 v29, v19, v18 op_sel:[0,1] op_sel_hi:[1,0]
	v_pk_add_f16 v19, v19, v18 op_sel:[0,1] op_sel_hi:[1,0] neg_lo:[0,1] neg_hi:[0,1]
	v_sub_f16_e32 v28, v28, v22
	v_sub_f16_e32 v21, v21, v23
	s_delay_alu instid0(VALU_DEP_3) | instskip(NEXT) | instid1(VALU_DEP_3)
	v_bfi_b32 v22, 0xffff, v29, v19
	v_sub_f16_e32 v23, v28, v18
                                        ; implicit-def: $vgpr28
.LBB0_14:
	s_wait_alu 0xfffe
	s_and_not1_saveexec_b32 s0, s0
	s_cbranch_execz .LBB0_16
; %bb.15:
	ds_load_u16 v18, v0 offset:578
	s_wait_dscnt 0x1
	s_wait_alu 0xfffe
	v_alignbit_b32 v19, s0, v28, 16
	v_lshrrev_b32_e32 v21, 16, v28
	v_mov_b32_e32 v23, 0
	s_delay_alu instid0(VALU_DEP_3) | instskip(NEXT) | instid1(VALU_DEP_3)
	v_pk_add_f16 v19, v19, v28
	v_sub_f16_e32 v21, v28, v21
	s_delay_alu instid0(VALU_DEP_2)
	v_pack_b32_f16 v22, v19, 0
	s_wait_dscnt 0x0
	v_xor_b32_e32 v18, 0x8000, v18
	ds_store_b16 v0, v18 offset:578
.LBB0_16:
	s_wait_alu 0xfffe
	s_or_b32 exec_lo, exec_lo, s0
	s_clause 0x4
	global_load_b32 v16, v[16:17], off offset:1128
	global_load_b32 v14, v[14:15], off offset:1128
	;; [unrolled: 1-line block ×5, first 2 shown]
	v_lshl_add_u32 v7, v7, 2, v0
	ds_store_b16 v4, v23 offset:1154
	ds_store_b32 v20, v22
	ds_store_b16 v4, v21 offset:1152
	ds_load_b32 v9, v7
	ds_load_b32 v11, v4 offset:1056
	s_wait_dscnt 0x0
	v_pk_add_f16 v13, v9, v11 neg_lo:[0,1] neg_hi:[0,1]
	v_pk_add_f16 v9, v9, v11
	s_delay_alu instid0(VALU_DEP_1) | instskip(SKIP_1) | instid1(VALU_DEP_2)
	v_bfi_b32 v11, 0xffff, v13, v9
	v_bfi_b32 v9, 0xffff, v9, v13
	v_pk_mul_f16 v11, v11, 0.5 op_sel_hi:[1,0]
	s_delay_alu instid0(VALU_DEP_2) | instskip(SKIP_1) | instid1(VALU_DEP_1)
	v_pk_mul_f16 v9, v9, 0.5 op_sel_hi:[1,0]
	s_wait_loadcnt 0x4
	v_pk_fma_f16 v13, v16, v11, v9 op_sel:[1,0,0]
	v_pk_mul_f16 v15, v16, v11 op_sel_hi:[0,1]
	v_pk_fma_f16 v17, v16, v11, v9 op_sel:[1,0,0] neg_lo:[1,0,0] neg_hi:[1,0,0]
	v_pk_fma_f16 v9, v16, v11, v9 op_sel:[1,0,0] neg_lo:[0,0,1] neg_hi:[0,0,1]
	s_delay_alu instid0(VALU_DEP_3) | instskip(SKIP_1) | instid1(VALU_DEP_4)
	v_pk_add_f16 v11, v13, v15 op_sel:[0,1] op_sel_hi:[1,0]
	v_pk_add_f16 v13, v13, v15 op_sel:[0,1] op_sel_hi:[1,0] neg_lo:[0,1] neg_hi:[0,1]
	v_pk_add_f16 v16, v17, v15 op_sel:[0,1] op_sel_hi:[1,0] neg_lo:[0,1] neg_hi:[0,1]
	s_delay_alu instid0(VALU_DEP_4) | instskip(NEXT) | instid1(VALU_DEP_3)
	v_pk_add_f16 v9, v9, v15 op_sel:[0,1] op_sel_hi:[1,0] neg_lo:[0,1] neg_hi:[0,1]
	v_bfi_b32 v11, 0xffff, v11, v13
	s_delay_alu instid0(VALU_DEP_2)
	v_bfi_b32 v9, 0xffff, v16, v9
	ds_store_b32 v7, v11
	ds_store_b32 v4, v9 offset:1056
	ds_load_b32 v7, v27
	ds_load_b32 v9, v4 offset:960
	s_wait_dscnt 0x0
	v_pk_add_f16 v11, v7, v9 neg_lo:[0,1] neg_hi:[0,1]
	v_pk_add_f16 v7, v7, v9
	s_delay_alu instid0(VALU_DEP_1) | instskip(SKIP_1) | instid1(VALU_DEP_2)
	v_bfi_b32 v9, 0xffff, v11, v7
	v_bfi_b32 v7, 0xffff, v7, v11
	v_pk_mul_f16 v9, v9, 0.5 op_sel_hi:[1,0]
	s_delay_alu instid0(VALU_DEP_2) | instskip(SKIP_1) | instid1(VALU_DEP_2)
	v_pk_mul_f16 v7, v7, 0.5 op_sel_hi:[1,0]
	s_wait_loadcnt 0x3
	v_pk_mul_f16 v13, v14, v9 op_sel_hi:[0,1]
	s_delay_alu instid0(VALU_DEP_2) | instskip(SKIP_2) | instid1(VALU_DEP_3)
	v_pk_fma_f16 v11, v14, v9, v7 op_sel:[1,0,0]
	v_pk_fma_f16 v15, v14, v9, v7 op_sel:[1,0,0] neg_lo:[1,0,0] neg_hi:[1,0,0]
	v_pk_fma_f16 v7, v14, v9, v7 op_sel:[1,0,0] neg_lo:[0,0,1] neg_hi:[0,0,1]
	v_pk_add_f16 v9, v11, v13 op_sel:[0,1] op_sel_hi:[1,0]
	v_pk_add_f16 v11, v11, v13 op_sel:[0,1] op_sel_hi:[1,0] neg_lo:[0,1] neg_hi:[0,1]
	s_delay_alu instid0(VALU_DEP_4) | instskip(NEXT) | instid1(VALU_DEP_4)
	v_pk_add_f16 v14, v15, v13 op_sel:[0,1] op_sel_hi:[1,0] neg_lo:[0,1] neg_hi:[0,1]
	v_pk_add_f16 v7, v7, v13 op_sel:[0,1] op_sel_hi:[1,0] neg_lo:[0,1] neg_hi:[0,1]
	s_delay_alu instid0(VALU_DEP_3) | instskip(NEXT) | instid1(VALU_DEP_2)
	v_bfi_b32 v9, 0xffff, v9, v11
	v_bfi_b32 v7, 0xffff, v14, v7
	ds_store_b32 v27, v9
	ds_store_b32 v4, v7 offset:960
	ds_load_b32 v7, v26
	ds_load_b32 v9, v4 offset:864
	s_wait_dscnt 0x0
	v_pk_add_f16 v11, v7, v9 neg_lo:[0,1] neg_hi:[0,1]
	v_pk_add_f16 v7, v7, v9
	s_delay_alu instid0(VALU_DEP_1) | instskip(SKIP_1) | instid1(VALU_DEP_2)
	v_bfi_b32 v9, 0xffff, v11, v7
	v_bfi_b32 v7, 0xffff, v7, v11
	v_pk_mul_f16 v9, v9, 0.5 op_sel_hi:[1,0]
	s_delay_alu instid0(VALU_DEP_2) | instskip(SKIP_1) | instid1(VALU_DEP_2)
	v_pk_mul_f16 v7, v7, 0.5 op_sel_hi:[1,0]
	s_wait_loadcnt 0x2
	v_pk_mul_f16 v13, v12, v9 op_sel_hi:[0,1]
	s_delay_alu instid0(VALU_DEP_2) | instskip(SKIP_2) | instid1(VALU_DEP_3)
	v_pk_fma_f16 v11, v12, v9, v7 op_sel:[1,0,0]
	v_pk_fma_f16 v14, v12, v9, v7 op_sel:[1,0,0] neg_lo:[1,0,0] neg_hi:[1,0,0]
	v_pk_fma_f16 v7, v12, v9, v7 op_sel:[1,0,0] neg_lo:[0,0,1] neg_hi:[0,0,1]
	v_pk_add_f16 v9, v11, v13 op_sel:[0,1] op_sel_hi:[1,0]
	v_pk_add_f16 v11, v11, v13 op_sel:[0,1] op_sel_hi:[1,0] neg_lo:[0,1] neg_hi:[0,1]
	s_delay_alu instid0(VALU_DEP_4) | instskip(NEXT) | instid1(VALU_DEP_4)
	v_pk_add_f16 v12, v14, v13 op_sel:[0,1] op_sel_hi:[1,0] neg_lo:[0,1] neg_hi:[0,1]
	v_pk_add_f16 v7, v7, v13 op_sel:[0,1] op_sel_hi:[1,0] neg_lo:[0,1] neg_hi:[0,1]
	s_delay_alu instid0(VALU_DEP_3) | instskip(NEXT) | instid1(VALU_DEP_2)
	v_bfi_b32 v9, 0xffff, v9, v11
	;; [unrolled: 27-line block ×4, first 2 shown]
	v_bfi_b32 v7, 0xffff, v10, v7
	ds_store_b32 v24, v8
	ds_store_b32 v4, v7 offset:672
	global_wb scope:SCOPE_SE
	s_wait_dscnt 0x0
	s_barrier_signal -1
	s_barrier_wait -1
	global_inv scope:SCOPE_SE
	s_and_saveexec_b32 s0, vcc_lo
	s_cbranch_execz .LBB0_19
; %bb.17:
	v_mul_lo_u32 v8, s3, v5
	v_mul_lo_u32 v9, s2, v6
	v_mad_co_u64_u32 v[6:7], null, s2, v5, 0
	v_mov_b32_e32 v4, 0
	v_lshl_add_u32 v5, v3, 2, v0
	v_lshlrev_b64_e32 v[0:1], 2, v[1:2]
	v_add_nc_u32_e32 v10, 48, v3
	v_add_nc_u32_e32 v12, 0x48, v3
	v_lshlrev_b64_e32 v[16:17], 2, v[3:4]
	v_add3_u32 v7, v7, v9, v8
	v_dual_mov_b32 v9, v4 :: v_dual_add_nc_u32 v8, 24, v3
	v_dual_mov_b32 v11, v4 :: v_dual_add_nc_u32 v18, 0x60, v3
	v_mov_b32_e32 v19, v4
	s_delay_alu instid0(VALU_DEP_4)
	v_lshlrev_b64_e32 v[6:7], 2, v[6:7]
	ds_load_2addr_b32 v[14:15], v5 offset1:24
	v_dual_mov_b32 v23, v4 :: v_dual_add_nc_u32 v22, 0x78, v3
	v_lshlrev_b64_e32 v[18:19], 2, v[18:19]
	ds_load_2addr_b32 v[20:21], v5 offset0:96 offset1:120
	v_add_co_u32 v2, vcc_lo, s6, v6
	s_wait_alu 0xfffd
	v_add_co_ci_u32_e32 v13, vcc_lo, s7, v7, vcc_lo
	v_lshlrev_b64_e32 v[6:7], 2, v[8:9]
	s_delay_alu instid0(VALU_DEP_3) | instskip(SKIP_1) | instid1(VALU_DEP_3)
	v_add_co_u32 v0, vcc_lo, v2, v0
	s_wait_alu 0xfffd
	v_add_co_ci_u32_e32 v1, vcc_lo, v13, v1, vcc_lo
	v_mov_b32_e32 v13, v4
	v_lshlrev_b64_e32 v[8:9], 2, v[10:11]
	v_add_co_u32 v10, vcc_lo, v0, v16
	s_wait_alu 0xfffd
	v_add_co_ci_u32_e32 v11, vcc_lo, v1, v17, vcc_lo
	v_add_co_u32 v6, vcc_lo, v0, v6
	v_lshlrev_b64_e32 v[12:13], 2, v[12:13]
	s_wait_alu 0xfffd
	v_add_co_ci_u32_e32 v7, vcc_lo, v1, v7, vcc_lo
	ds_load_2addr_b32 v[16:17], v5 offset0:48 offset1:72
	v_add_co_u32 v8, vcc_lo, v0, v8
	v_dual_mov_b32 v25, v4 :: v_dual_add_nc_u32 v24, 0x90, v3
	s_wait_alu 0xfffd
	v_add_co_ci_u32_e32 v9, vcc_lo, v1, v9, vcc_lo
	v_add_co_u32 v12, vcc_lo, v0, v12
	v_lshlrev_b64_e32 v[22:23], 2, v[22:23]
	ds_load_2addr_b32 v[26:27], v5 offset0:144 offset1:168
	v_dual_mov_b32 v29, v4 :: v_dual_add_nc_u32 v28, 0xa8, v3
	s_wait_alu 0xfffd
	v_add_co_ci_u32_e32 v13, vcc_lo, v1, v13, vcc_lo
	v_add_co_u32 v18, vcc_lo, v0, v18
	v_lshlrev_b64_e32 v[24:25], 2, v[24:25]
	s_wait_alu 0xfffd
	v_add_co_ci_u32_e32 v19, vcc_lo, v1, v19, vcc_lo
	v_add_co_u32 v22, vcc_lo, v0, v22
	v_lshlrev_b64_e32 v[28:29], 2, v[28:29]
	s_wait_alu 0xfffd
	v_add_co_ci_u32_e32 v23, vcc_lo, v1, v23, vcc_lo
	v_add_co_u32 v24, vcc_lo, v0, v24
	s_wait_alu 0xfffd
	v_add_co_ci_u32_e32 v25, vcc_lo, v1, v25, vcc_lo
	v_dual_mov_b32 v31, v4 :: v_dual_add_nc_u32 v30, 0xc0, v3
	v_add_co_u32 v28, vcc_lo, v0, v28
	s_wait_alu 0xfffd
	v_add_co_ci_u32_e32 v29, vcc_lo, v1, v29, vcc_lo
	s_wait_dscnt 0x3
	s_clause 0x1
	global_store_b32 v[10:11], v14, off
	global_store_b32 v[6:7], v15, off
	s_wait_dscnt 0x1
	s_clause 0x3
	global_store_b32 v[8:9], v16, off
	global_store_b32 v[12:13], v17, off
	;; [unrolled: 1-line block ×4, first 2 shown]
	s_wait_dscnt 0x0
	s_clause 0x1
	global_store_b32 v[24:25], v26, off
	global_store_b32 v[28:29], v27, off
	v_dual_mov_b32 v11, v4 :: v_dual_add_nc_u32 v10, 0xd8, v3
	v_lshlrev_b64_e32 v[8:9], 2, v[30:31]
	v_dual_mov_b32 v17, v4 :: v_dual_add_nc_u32 v2, 0x200, v5
	v_dual_mov_b32 v13, v4 :: v_dual_add_nc_u32 v12, 0xf0, v3
	ds_load_2addr_b32 v[6:7], v5 offset0:192 offset1:216
	v_lshlrev_b64_e32 v[10:11], 2, v[10:11]
	v_add_nc_u32_e32 v16, 0x108, v3
	ds_load_2addr_b32 v[14:15], v2 offset0:112 offset1:136
	v_add_co_u32 v8, vcc_lo, v0, v8
	v_lshlrev_b64_e32 v[12:13], 2, v[12:13]
	s_wait_alu 0xfffd
	v_add_co_ci_u32_e32 v9, vcc_lo, v1, v9, vcc_lo
	v_add_co_u32 v10, vcc_lo, v0, v10
	v_lshlrev_b64_e32 v[16:17], 2, v[16:17]
	s_wait_alu 0xfffd
	v_add_co_ci_u32_e32 v11, vcc_lo, v1, v11, vcc_lo
	v_add_co_u32 v12, vcc_lo, v0, v12
	s_wait_alu 0xfffd
	v_add_co_ci_u32_e32 v13, vcc_lo, v1, v13, vcc_lo
	v_add_co_u32 v16, vcc_lo, v0, v16
	s_wait_alu 0xfffd
	v_add_co_ci_u32_e32 v17, vcc_lo, v1, v17, vcc_lo
	v_cmp_eq_u32_e32 vcc_lo, 23, v3
	s_wait_dscnt 0x1
	s_clause 0x1
	global_store_b32 v[8:9], v6, off
	global_store_b32 v[10:11], v7, off
	s_wait_dscnt 0x0
	s_clause 0x1
	global_store_b32 v[12:13], v14, off
	global_store_b32 v[16:17], v15, off
	s_and_b32 exec_lo, exec_lo, vcc_lo
	s_cbranch_execz .LBB0_19
; %bb.18:
	ds_load_b32 v2, v5 offset:1060
	s_wait_dscnt 0x0
	global_store_b32 v[0:1], v2, off offset:1152
.LBB0_19:
	s_nop 0
	s_sendmsg sendmsg(MSG_DEALLOC_VGPRS)
	s_endpgm
	.section	.rodata,"a",@progbits
	.p2align	6, 0x0
	.amdhsa_kernel fft_rtc_back_len288_factors_6_6_4_2_wgs_120_tpt_24_halfLds_half_op_CI_CI_unitstride_sbrr_R2C_dirReg
		.amdhsa_group_segment_fixed_size 0
		.amdhsa_private_segment_fixed_size 0
		.amdhsa_kernarg_size 104
		.amdhsa_user_sgpr_count 2
		.amdhsa_user_sgpr_dispatch_ptr 0
		.amdhsa_user_sgpr_queue_ptr 0
		.amdhsa_user_sgpr_kernarg_segment_ptr 1
		.amdhsa_user_sgpr_dispatch_id 0
		.amdhsa_user_sgpr_private_segment_size 0
		.amdhsa_wavefront_size32 1
		.amdhsa_uses_dynamic_stack 0
		.amdhsa_enable_private_segment 0
		.amdhsa_system_sgpr_workgroup_id_x 1
		.amdhsa_system_sgpr_workgroup_id_y 0
		.amdhsa_system_sgpr_workgroup_id_z 0
		.amdhsa_system_sgpr_workgroup_info 0
		.amdhsa_system_vgpr_workitem_id 0
		.amdhsa_next_free_vgpr 87
		.amdhsa_next_free_sgpr 39
		.amdhsa_reserve_vcc 1
		.amdhsa_float_round_mode_32 0
		.amdhsa_float_round_mode_16_64 0
		.amdhsa_float_denorm_mode_32 3
		.amdhsa_float_denorm_mode_16_64 3
		.amdhsa_fp16_overflow 0
		.amdhsa_workgroup_processor_mode 1
		.amdhsa_memory_ordered 1
		.amdhsa_forward_progress 0
		.amdhsa_round_robin_scheduling 0
		.amdhsa_exception_fp_ieee_invalid_op 0
		.amdhsa_exception_fp_denorm_src 0
		.amdhsa_exception_fp_ieee_div_zero 0
		.amdhsa_exception_fp_ieee_overflow 0
		.amdhsa_exception_fp_ieee_underflow 0
		.amdhsa_exception_fp_ieee_inexact 0
		.amdhsa_exception_int_div_zero 0
	.end_amdhsa_kernel
	.text
.Lfunc_end0:
	.size	fft_rtc_back_len288_factors_6_6_4_2_wgs_120_tpt_24_halfLds_half_op_CI_CI_unitstride_sbrr_R2C_dirReg, .Lfunc_end0-fft_rtc_back_len288_factors_6_6_4_2_wgs_120_tpt_24_halfLds_half_op_CI_CI_unitstride_sbrr_R2C_dirReg
                                        ; -- End function
	.section	.AMDGPU.csdata,"",@progbits
; Kernel info:
; codeLenInByte = 8056
; NumSgprs: 41
; NumVgprs: 87
; ScratchSize: 0
; MemoryBound: 0
; FloatMode: 240
; IeeeMode: 1
; LDSByteSize: 0 bytes/workgroup (compile time only)
; SGPRBlocks: 5
; VGPRBlocks: 10
; NumSGPRsForWavesPerEU: 41
; NumVGPRsForWavesPerEU: 87
; Occupancy: 16
; WaveLimiterHint : 1
; COMPUTE_PGM_RSRC2:SCRATCH_EN: 0
; COMPUTE_PGM_RSRC2:USER_SGPR: 2
; COMPUTE_PGM_RSRC2:TRAP_HANDLER: 0
; COMPUTE_PGM_RSRC2:TGID_X_EN: 1
; COMPUTE_PGM_RSRC2:TGID_Y_EN: 0
; COMPUTE_PGM_RSRC2:TGID_Z_EN: 0
; COMPUTE_PGM_RSRC2:TIDIG_COMP_CNT: 0
	.text
	.p2alignl 7, 3214868480
	.fill 96, 4, 3214868480
	.type	__hip_cuid_c7f92975ba8e6ca7,@object ; @__hip_cuid_c7f92975ba8e6ca7
	.section	.bss,"aw",@nobits
	.globl	__hip_cuid_c7f92975ba8e6ca7
__hip_cuid_c7f92975ba8e6ca7:
	.byte	0                               ; 0x0
	.size	__hip_cuid_c7f92975ba8e6ca7, 1

	.ident	"AMD clang version 19.0.0git (https://github.com/RadeonOpenCompute/llvm-project roc-6.4.0 25133 c7fe45cf4b819c5991fe208aaa96edf142730f1d)"
	.section	".note.GNU-stack","",@progbits
	.addrsig
	.addrsig_sym __hip_cuid_c7f92975ba8e6ca7
	.amdgpu_metadata
---
amdhsa.kernels:
  - .args:
      - .actual_access:  read_only
        .address_space:  global
        .offset:         0
        .size:           8
        .value_kind:     global_buffer
      - .offset:         8
        .size:           8
        .value_kind:     by_value
      - .actual_access:  read_only
        .address_space:  global
        .offset:         16
        .size:           8
        .value_kind:     global_buffer
      - .actual_access:  read_only
        .address_space:  global
        .offset:         24
        .size:           8
        .value_kind:     global_buffer
      - .actual_access:  read_only
        .address_space:  global
        .offset:         32
        .size:           8
        .value_kind:     global_buffer
      - .offset:         40
        .size:           8
        .value_kind:     by_value
      - .actual_access:  read_only
        .address_space:  global
        .offset:         48
        .size:           8
        .value_kind:     global_buffer
      - .actual_access:  read_only
        .address_space:  global
        .offset:         56
        .size:           8
        .value_kind:     global_buffer
      - .offset:         64
        .size:           4
        .value_kind:     by_value
      - .actual_access:  read_only
        .address_space:  global
        .offset:         72
        .size:           8
        .value_kind:     global_buffer
      - .actual_access:  read_only
        .address_space:  global
        .offset:         80
        .size:           8
        .value_kind:     global_buffer
      - .actual_access:  read_only
        .address_space:  global
        .offset:         88
        .size:           8
        .value_kind:     global_buffer
      - .actual_access:  write_only
        .address_space:  global
        .offset:         96
        .size:           8
        .value_kind:     global_buffer
    .group_segment_fixed_size: 0
    .kernarg_segment_align: 8
    .kernarg_segment_size: 104
    .language:       OpenCL C
    .language_version:
      - 2
      - 0
    .max_flat_workgroup_size: 120
    .name:           fft_rtc_back_len288_factors_6_6_4_2_wgs_120_tpt_24_halfLds_half_op_CI_CI_unitstride_sbrr_R2C_dirReg
    .private_segment_fixed_size: 0
    .sgpr_count:     41
    .sgpr_spill_count: 0
    .symbol:         fft_rtc_back_len288_factors_6_6_4_2_wgs_120_tpt_24_halfLds_half_op_CI_CI_unitstride_sbrr_R2C_dirReg.kd
    .uniform_work_group_size: 1
    .uses_dynamic_stack: false
    .vgpr_count:     87
    .vgpr_spill_count: 0
    .wavefront_size: 32
    .workgroup_processor_mode: 1
amdhsa.target:   amdgcn-amd-amdhsa--gfx1201
amdhsa.version:
  - 1
  - 2
...

	.end_amdgpu_metadata
